;; amdgpu-corpus repo=tuanlda78202/gpt-oss-amd kind=compiled arch=gfx1250 opt=O3
	.amdgcn_target "amdgcn-amd-amdhsa--gfx1250"
	.amdhsa_code_object_version 6
	.text
	.protected	_Z13argmax_kernelPfiPi  ; -- Begin function _Z13argmax_kernelPfiPi
	.globl	_Z13argmax_kernelPfiPi
	.p2align	8
	.type	_Z13argmax_kernelPfiPi,@function
_Z13argmax_kernelPfiPi:                 ; @_Z13argmax_kernelPfiPi
; %bb.0:
	s_clause 0x1
	s_load_b32 s5, s[0:1], 0x8
	s_load_b32 s2, s[0:1], 0x24
	v_dual_mov_b32 v1, 0xff800000 :: v_dual_lshlrev_b32 v2, 2, v0
	v_mov_b32_e32 v3, 0
	s_mov_b32 s6, exec_lo
	s_wait_kmcnt 0x0
	s_and_b32 s4, s2, 0xffff
	v_cmpx_gt_i32_e64 s5, v0
	s_cbranch_execz .LBB0_4
; %bb.1:
	s_load_b64 s[2:3], s[0:1], 0x0
	v_dual_mov_b32 v3, 0 :: v_dual_mov_b32 v6, v0
	v_mov_b32_e32 v1, 0xff800000
	s_wait_kmcnt 0x0
	s_delay_alu instid0(VALU_DEP_2)
	v_add_nc_u64_e32 v[4:5], s[2:3], v[2:3]
	s_mov_b32 s3, 0
	s_lshl_b32 s2, s4, 2
	s_mov_b32 s7, s3
.LBB0_2:                                ; =>This Inner Loop Header: Depth=1
	global_load_b32 v7, v[4:5], off
	s_wait_xcnt 0x0
	v_add_nc_u64_e32 v[4:5], s[2:3], v[4:5]
	s_wait_loadcnt 0x0
	v_cmp_gt_f32_e32 vcc_lo, v7, v1
	v_dual_cndmask_b32 v1, v1, v7, vcc_lo :: v_dual_cndmask_b32 v3, v3, v6, vcc_lo
	v_add_nc_u32_e32 v6, s4, v6
	s_delay_alu instid0(VALU_DEP_1) | instskip(SKIP_1) | instid1(SALU_CYCLE_1)
	v_cmp_le_i32_e32 vcc_lo, s5, v6
	s_or_b32 s7, vcc_lo, s7
	s_and_not1_b32 exec_lo, exec_lo, s7
	s_cbranch_execnz .LBB0_2
; %bb.3:
	s_or_b32 exec_lo, exec_lo, s7
.LBB0_4:
	s_delay_alu instid0(SALU_CYCLE_1)
	s_or_b32 exec_lo, exec_lo, s6
	s_cmp_lt_u32 s4, 2
	ds_store_2addr_stride64_b32 v2, v1, v3 offset1:16
	s_wait_dscnt 0x0
	s_barrier_signal -1
	s_barrier_wait -1
	s_cbranch_scc1 .LBB0_10
; %bb.5:
	v_or_b32_e32 v1, 0x1000, v2
	s_branch .LBB0_7
.LBB0_6:                                ;   in Loop: Header=BB0_7 Depth=1
	s_or_b32 exec_lo, exec_lo, s3
	s_cmp_lt_u32 s2, 4
	s_wait_dscnt 0x0
	s_barrier_signal -1
	s_barrier_wait -1
	s_cbranch_scc1 .LBB0_10
.LBB0_7:                                ; =>This Inner Loop Header: Depth=1
	s_mov_b32 s2, s4
	s_lshr_b32 s4, s4, 1
	s_mov_b32 s3, exec_lo
	v_cmpx_gt_u32_e64 s4, v0
	s_cbranch_execz .LBB0_6
; %bb.8:                                ;   in Loop: Header=BB0_7 Depth=1
	v_lshl_add_u32 v3, s4, 2, v2
	ds_load_b32 v4, v2
	ds_load_b32 v3, v3
	s_wait_dscnt 0x0
	v_cmp_lt_f32_e32 vcc_lo, v4, v3
	s_and_b32 exec_lo, exec_lo, vcc_lo
	s_cbranch_execz .LBB0_6
; %bb.9:                                ;   in Loop: Header=BB0_7 Depth=1
	v_lshl_add_u32 v4, s4, 2, v1
	ds_load_b32 v4, v4
	ds_store_b32 v2, v3
	s_wait_dscnt 0x1
	ds_store_b32 v1, v4
	s_branch .LBB0_6
.LBB0_10:
	s_mov_b32 s2, exec_lo
	v_cmpx_eq_u32_e32 0, v0
	s_cbranch_execz .LBB0_12
; %bb.11:
	v_mov_b32_e32 v0, 0
	s_load_b64 s[0:1], s[0:1], 0x10
	ds_load_b32 v1, v0 offset:4096
	s_wait_dscnt 0x0
	s_wait_kmcnt 0x0
	global_store_b32 v0, v1, s[0:1]
.LBB0_12:
	s_endpgm
	.section	.rodata,"a",@progbits
	.p2align	6, 0x0
	.amdhsa_kernel _Z13argmax_kernelPfiPi
		.amdhsa_group_segment_fixed_size 8192
		.amdhsa_private_segment_fixed_size 0
		.amdhsa_kernarg_size 280
		.amdhsa_user_sgpr_count 2
		.amdhsa_user_sgpr_dispatch_ptr 0
		.amdhsa_user_sgpr_queue_ptr 0
		.amdhsa_user_sgpr_kernarg_segment_ptr 1
		.amdhsa_user_sgpr_dispatch_id 0
		.amdhsa_user_sgpr_kernarg_preload_length 0
		.amdhsa_user_sgpr_kernarg_preload_offset 0
		.amdhsa_user_sgpr_private_segment_size 0
		.amdhsa_wavefront_size32 1
		.amdhsa_uses_dynamic_stack 0
		.amdhsa_enable_private_segment 0
		.amdhsa_system_sgpr_workgroup_id_x 1
		.amdhsa_system_sgpr_workgroup_id_y 0
		.amdhsa_system_sgpr_workgroup_id_z 0
		.amdhsa_system_sgpr_workgroup_info 0
		.amdhsa_system_vgpr_workitem_id 0
		.amdhsa_next_free_vgpr 8
		.amdhsa_next_free_sgpr 8
		.amdhsa_named_barrier_count 0
		.amdhsa_reserve_vcc 1
		.amdhsa_float_round_mode_32 0
		.amdhsa_float_round_mode_16_64 0
		.amdhsa_float_denorm_mode_32 3
		.amdhsa_float_denorm_mode_16_64 3
		.amdhsa_fp16_overflow 0
		.amdhsa_memory_ordered 1
		.amdhsa_forward_progress 1
		.amdhsa_inst_pref_size 4
		.amdhsa_round_robin_scheduling 0
		.amdhsa_exception_fp_ieee_invalid_op 0
		.amdhsa_exception_fp_denorm_src 0
		.amdhsa_exception_fp_ieee_div_zero 0
		.amdhsa_exception_fp_ieee_overflow 0
		.amdhsa_exception_fp_ieee_underflow 0
		.amdhsa_exception_fp_ieee_inexact 0
		.amdhsa_exception_int_div_zero 0
	.end_amdhsa_kernel
	.text
.Lfunc_end0:
	.size	_Z13argmax_kernelPfiPi, .Lfunc_end0-_Z13argmax_kernelPfiPi
                                        ; -- End function
	.set _Z13argmax_kernelPfiPi.num_vgpr, 8
	.set _Z13argmax_kernelPfiPi.num_agpr, 0
	.set _Z13argmax_kernelPfiPi.numbered_sgpr, 8
	.set _Z13argmax_kernelPfiPi.num_named_barrier, 0
	.set _Z13argmax_kernelPfiPi.private_seg_size, 0
	.set _Z13argmax_kernelPfiPi.uses_vcc, 1
	.set _Z13argmax_kernelPfiPi.uses_flat_scratch, 0
	.set _Z13argmax_kernelPfiPi.has_dyn_sized_stack, 0
	.set _Z13argmax_kernelPfiPi.has_recursion, 0
	.set _Z13argmax_kernelPfiPi.has_indirect_call, 0
	.section	.AMDGPU.csdata,"",@progbits
; Kernel info:
; codeLenInByte = 412
; TotalNumSgprs: 10
; NumVgprs: 8
; ScratchSize: 0
; MemoryBound: 0
; FloatMode: 240
; IeeeMode: 1
; LDSByteSize: 8192 bytes/workgroup (compile time only)
; SGPRBlocks: 0
; VGPRBlocks: 0
; NumSGPRsForWavesPerEU: 10
; NumVGPRsForWavesPerEU: 8
; NamedBarCnt: 0
; Occupancy: 16
; WaveLimiterHint : 0
; COMPUTE_PGM_RSRC2:SCRATCH_EN: 0
; COMPUTE_PGM_RSRC2:USER_SGPR: 2
; COMPUTE_PGM_RSRC2:TRAP_HANDLER: 0
; COMPUTE_PGM_RSRC2:TGID_X_EN: 1
; COMPUTE_PGM_RSRC2:TGID_Y_EN: 0
; COMPUTE_PGM_RSRC2:TGID_Z_EN: 0
; COMPUTE_PGM_RSRC2:TIDIG_COMP_CNT: 0
	.text
	.protected	_Z21argmax_batched_kernelPKfiiPKiPi ; -- Begin function _Z21argmax_batched_kernelPKfiiPKiPi
	.globl	_Z21argmax_batched_kernelPKfiiPKiPi
	.p2align	8
	.type	_Z21argmax_batched_kernelPKfiiPKiPi,@function
_Z21argmax_batched_kernelPKfiiPKiPi:    ; @_Z21argmax_batched_kernelPKfiiPKiPi
; %bb.0:
	s_load_b64 s[4:5], s[0:1], 0x10
	s_bfe_u32 s2, ttmp6, 0x4000c
	s_and_b32 s3, ttmp6, 15
	s_add_co_i32 s2, s2, 1
	s_getreg_b32 s6, hwreg(HW_REG_IB_STS2, 6, 4)
	s_mul_i32 s2, ttmp9, s2
	s_delay_alu instid0(SALU_CYCLE_1) | instskip(SKIP_2) | instid1(SALU_CYCLE_1)
	s_add_co_i32 s3, s3, s2
	s_cmp_eq_u32 s6, 0
	s_cselect_b32 s2, ttmp9, s3
	s_mov_b32 s12, s2
	s_wait_kmcnt 0x0
	s_cmp_eq_u64 s[4:5], 0
	s_cbranch_scc1 .LBB1_2
; %bb.1:
	s_ashr_i32 s3, s2, 31
	s_delay_alu instid0(SALU_CYCLE_1) | instskip(NEXT) | instid1(SALU_CYCLE_1)
	s_lshl_b64 s[6:7], s[2:3], 2
	s_add_nc_u64 s[4:5], s[4:5], s[6:7]
	s_load_b32 s12, s[4:5], 0x0
.LBB1_2:
	s_load_b64 s[6:7], s[0:1], 0x8
	s_add_nc_u64 s[10:11], s[0:1], 32
	s_mov_b32 s3, exec_lo
                                        ; implicit-def: $sgpr8
	s_wait_kmcnt 0x0
	v_cmpx_le_i32_e64 s6, v0
	s_xor_b32 s3, exec_lo, s3
; %bb.3:
	s_load_b32 s8, s[10:11], 0xc
; %bb.4:
	s_or_saveexec_b32 s3, s3
	s_load_b64 s[4:5], s[0:1], 0x18
	v_dual_mov_b32 v3, 0 :: v_dual_mov_b32 v2, 0xff800000
	s_wait_kmcnt 0x0
	v_mov_b32_e32 v4, s8
	s_xor_b32 exec_lo, exec_lo, s3
	s_cbranch_execz .LBB1_8
; %bb.5:
	s_load_b32 s13, s[10:11], 0xc
	s_load_b64 s[8:9], s[0:1], 0x0
	v_dual_mov_b32 v2, 0xff800000 :: v_dual_mov_b32 v3, 0
	v_mov_b32_e32 v1, v0
	s_wait_xcnt 0x0
	s_mul_i32 s1, s12, s7
	s_mov_b32 s7, 0
	s_wait_kmcnt 0x0
	s_and_b32 s10, s13, 0xffff
.LBB1_6:                                ; =>This Inner Loop Header: Depth=1
	v_add_nc_u32_e32 v4, s1, v1
	global_load_b32 v4, v4, s[8:9] scale_offset
	s_wait_loadcnt 0x0
	v_cmp_gt_f32_e32 vcc_lo, v4, v2
	v_dual_cndmask_b32 v3, v3, v1, vcc_lo :: v_dual_add_nc_u32 v1, s10, v1
	v_cndmask_b32_e32 v2, v2, v4, vcc_lo
	s_delay_alu instid0(VALU_DEP_2) | instskip(SKIP_1) | instid1(SALU_CYCLE_1)
	v_cmp_le_i32_e64 s0, s6, v1
	s_or_b32 s7, s0, s7
	s_and_not1_b32 exec_lo, exec_lo, s7
	s_cbranch_execnz .LBB1_6
; %bb.7:
	s_or_b32 exec_lo, exec_lo, s7
	v_mov_b32_e32 v4, s13
.LBB1_8:
	s_or_b32 exec_lo, exec_lo, s3
	v_lshlrev_b32_e32 v1, 2, v0
	s_mov_b32 s0, exec_lo
	ds_store_2addr_stride64_b32 v1, v3, v2 offset1:16
	s_wait_dscnt 0x0
	s_barrier_signal -1
	s_barrier_wait -1
	v_cmpx_lt_u16_e32 1, v4
	s_cbranch_execz .LBB1_14
; %bb.9:
	v_lshrrev_b16 v3, 1, v4
	v_or_b32_e32 v2, 0x1000, v1
	s_mov_b32 s1, 0
	s_delay_alu instid0(VALU_DEP_2)
	v_and_b32_e32 v3, 0xffff, v3
	s_branch .LBB1_11
.LBB1_10:                               ;   in Loop: Header=BB1_11 Depth=1
	s_or_b32 exec_lo, exec_lo, s3
	v_lshrrev_b32_e32 v4, 1, v3
	v_cmp_gt_u32_e32 vcc_lo, 2, v3
	s_wait_dscnt 0x0
	s_barrier_signal -1
	s_barrier_wait -1
	v_mov_b32_e32 v3, v4
	s_or_b32 s1, vcc_lo, s1
	s_delay_alu instid0(SALU_CYCLE_1)
	s_and_not1_b32 exec_lo, exec_lo, s1
	s_cbranch_execz .LBB1_14
.LBB1_11:                               ; =>This Inner Loop Header: Depth=1
	s_mov_b32 s3, exec_lo
	s_delay_alu instid0(VALU_DEP_1)
	v_cmpx_lt_u32_e64 v0, v3
	s_cbranch_execz .LBB1_10
; %bb.12:                               ;   in Loop: Header=BB1_11 Depth=1
	v_lshl_add_u32 v4, v3, 2, v2
	ds_load_b32 v5, v2
	ds_load_b32 v4, v4
	s_wait_dscnt 0x0
	v_cmp_lt_f32_e32 vcc_lo, v5, v4
	s_and_b32 exec_lo, exec_lo, vcc_lo
	s_cbranch_execz .LBB1_10
; %bb.13:                               ;   in Loop: Header=BB1_11 Depth=1
	v_lshl_add_u32 v5, v3, 2, v1
	ds_load_b32 v5, v5
	ds_store_b32 v2, v4
	s_wait_dscnt 0x1
	ds_store_b32 v1, v5
	s_branch .LBB1_10
.LBB1_14:
	s_or_b32 exec_lo, exec_lo, s0
	s_delay_alu instid0(SALU_CYCLE_1)
	s_mov_b32 s0, exec_lo
	v_cmpx_eq_u32_e32 0, v0
	s_cbranch_execz .LBB1_16
; %bb.15:
	v_dual_mov_b32 v0, 0 :: v_dual_mov_b32 v1, s2
	ds_load_b32 v0, v0
	s_wait_dscnt 0x0
	global_store_b32 v1, v0, s[4:5] scale_offset
.LBB1_16:
	s_endpgm
	.section	.rodata,"a",@progbits
	.p2align	6, 0x0
	.amdhsa_kernel _Z21argmax_batched_kernelPKfiiPKiPi
		.amdhsa_group_segment_fixed_size 8192
		.amdhsa_private_segment_fixed_size 0
		.amdhsa_kernarg_size 288
		.amdhsa_user_sgpr_count 2
		.amdhsa_user_sgpr_dispatch_ptr 0
		.amdhsa_user_sgpr_queue_ptr 0
		.amdhsa_user_sgpr_kernarg_segment_ptr 1
		.amdhsa_user_sgpr_dispatch_id 0
		.amdhsa_user_sgpr_kernarg_preload_length 0
		.amdhsa_user_sgpr_kernarg_preload_offset 0
		.amdhsa_user_sgpr_private_segment_size 0
		.amdhsa_wavefront_size32 1
		.amdhsa_uses_dynamic_stack 0
		.amdhsa_enable_private_segment 0
		.amdhsa_system_sgpr_workgroup_id_x 1
		.amdhsa_system_sgpr_workgroup_id_y 0
		.amdhsa_system_sgpr_workgroup_id_z 0
		.amdhsa_system_sgpr_workgroup_info 0
		.amdhsa_system_vgpr_workitem_id 0
		.amdhsa_next_free_vgpr 6
		.amdhsa_next_free_sgpr 14
		.amdhsa_named_barrier_count 0
		.amdhsa_reserve_vcc 1
		.amdhsa_float_round_mode_32 0
		.amdhsa_float_round_mode_16_64 0
		.amdhsa_float_denorm_mode_32 3
		.amdhsa_float_denorm_mode_16_64 3
		.amdhsa_fp16_overflow 0
		.amdhsa_memory_ordered 1
		.amdhsa_forward_progress 1
		.amdhsa_inst_pref_size 5
		.amdhsa_round_robin_scheduling 0
		.amdhsa_exception_fp_ieee_invalid_op 0
		.amdhsa_exception_fp_denorm_src 0
		.amdhsa_exception_fp_ieee_div_zero 0
		.amdhsa_exception_fp_ieee_overflow 0
		.amdhsa_exception_fp_ieee_underflow 0
		.amdhsa_exception_fp_ieee_inexact 0
		.amdhsa_exception_int_div_zero 0
	.end_amdhsa_kernel
	.text
.Lfunc_end1:
	.size	_Z21argmax_batched_kernelPKfiiPKiPi, .Lfunc_end1-_Z21argmax_batched_kernelPKfiiPKiPi
                                        ; -- End function
	.set _Z21argmax_batched_kernelPKfiiPKiPi.num_vgpr, 6
	.set _Z21argmax_batched_kernelPKfiiPKiPi.num_agpr, 0
	.set _Z21argmax_batched_kernelPKfiiPKiPi.numbered_sgpr, 14
	.set _Z21argmax_batched_kernelPKfiiPKiPi.num_named_barrier, 0
	.set _Z21argmax_batched_kernelPKfiiPKiPi.private_seg_size, 0
	.set _Z21argmax_batched_kernelPKfiiPKiPi.uses_vcc, 1
	.set _Z21argmax_batched_kernelPKfiiPKiPi.uses_flat_scratch, 0
	.set _Z21argmax_batched_kernelPKfiiPKiPi.has_dyn_sized_stack, 0
	.set _Z21argmax_batched_kernelPKfiiPKiPi.has_recursion, 0
	.set _Z21argmax_batched_kernelPKfiiPKiPi.has_indirect_call, 0
	.section	.AMDGPU.csdata,"",@progbits
; Kernel info:
; codeLenInByte = 572
; TotalNumSgprs: 16
; NumVgprs: 6
; ScratchSize: 0
; MemoryBound: 0
; FloatMode: 240
; IeeeMode: 1
; LDSByteSize: 8192 bytes/workgroup (compile time only)
; SGPRBlocks: 0
; VGPRBlocks: 0
; NumSGPRsForWavesPerEU: 16
; NumVGPRsForWavesPerEU: 6
; NamedBarCnt: 0
; Occupancy: 16
; WaveLimiterHint : 0
; COMPUTE_PGM_RSRC2:SCRATCH_EN: 0
; COMPUTE_PGM_RSRC2:USER_SGPR: 2
; COMPUTE_PGM_RSRC2:TRAP_HANDLER: 0
; COMPUTE_PGM_RSRC2:TGID_X_EN: 1
; COMPUTE_PGM_RSRC2:TGID_Y_EN: 0
; COMPUTE_PGM_RSRC2:TGID_Z_EN: 0
; COMPUTE_PGM_RSRC2:TIDIG_COMP_CNT: 0
	.text
	.protected	_Z25multinomial_sample_kernelPfiyPi ; -- Begin function _Z25multinomial_sample_kernelPfiyPi
	.globl	_Z25multinomial_sample_kernelPfiyPi
	.p2align	8
	.type	_Z25multinomial_sample_kernelPfiyPi,@function
_Z25multinomial_sample_kernelPfiyPi:    ; @_Z25multinomial_sample_kernelPfiyPi
; %bb.0:
	s_mov_b32 s2, exec_lo
	v_cmpx_eq_u32_e32 0, v0
	s_cbranch_execz .LBB2_9
; %bb.1:
	s_clause 0x1
	s_load_b32 s8, s[0:1], 0x8
	s_load_b128 s[4:7], s[0:1], 0x10
	s_wait_kmcnt 0x0
	s_cmp_lt_i32 s8, 1
	s_cbranch_scc1 .LBB2_10
; %bb.2:
	s_bfe_u32 s2, ttmp6, 0x4000c
	s_and_b32 s3, ttmp6, 15
	s_add_co_i32 s2, s2, 1
	s_getreg_b32 s9, hwreg(HW_REG_IB_STS2, 6, 4)
	s_mul_i32 s2, ttmp9, s2
	s_load_b64 s[0:1], s[0:1], 0x0
	s_add_co_i32 s2, s3, s2
	s_cmp_eq_u32 s9, 0
	s_mov_b32 s3, 0
	s_cselect_b32 s2, ttmp9, s2
	s_delay_alu instid0(SALU_CYCLE_1) | instskip(SKIP_4) | instid1(SALU_CYCLE_1)
	s_add_nc_u64 s[4:5], s[4:5], s[2:3]
	s_clz_i32_u32 s2, 0
	s_lshr_b64 s[10:11], s[4:5], 12
	s_min_u32 s9, s2, 32
	s_xor_b64 s[4:5], s[10:11], s[4:5]
	s_lshl_b64 s[10:11], s[4:5], 25
	s_delay_alu instid0(SALU_CYCLE_1) | instskip(NEXT) | instid1(SALU_CYCLE_1)
	s_xor_b64 s[4:5], s[10:11], s[4:5]
	s_lshr_b64 s[10:11], s[4:5], 27
	s_delay_alu instid0(SALU_CYCLE_1) | instskip(NEXT) | instid1(SALU_CYCLE_1)
	s_xor_b64 s[4:5], s[10:11], s[4:5]
	s_mul_u64 s[4:5], s[4:5], 0x2545f4914f6cdd1d
	s_delay_alu instid0(SALU_CYCLE_1) | instskip(NEXT) | instid1(SALU_CYCLE_1)
	s_lshr_b32 s2, s5, 8
	s_lshl_b64 s[4:5], s[2:3], s9
	s_delay_alu instid0(SALU_CYCLE_1) | instskip(SKIP_2) | instid1(SALU_CYCLE_1)
	s_min_u32 s2, s4, 1
	s_sub_co_i32 s4, 32, s9
	s_or_b32 s2, s5, s2
	s_cvt_f32_u32 s2, s2
	s_delay_alu instid0(SALU_CYCLE_3) | instskip(SKIP_1) | instid1(VALU_DEP_1)
	v_ldexp_f32 v0, s2, s4
	s_mov_b32 s4, s3
	v_mul_f32_e32 v0, 0x33800000, v0
	s_branch .LBB2_4
.LBB2_3:                                ;   in Loop: Header=BB2_4 Depth=1
	s_and_not1_b32 vcc_lo, exec_lo, s9
	s_cbranch_vccz .LBB2_6
.LBB2_4:                                ; =>This Inner Loop Header: Depth=1
	s_wait_kmcnt 0x0
	s_load_b32 s2, s[0:1], 0x0
	s_mov_b32 s5, -1
	s_mov_b32 s9, -1
	s_wait_kmcnt 0x0
	s_add_f32 s4, s4, s2
	s_mov_b32 s2, s3
                                        ; implicit-def: $sgpr3
	s_delay_alu instid0(SALU_CYCLE_2)
	v_cmp_gt_f32_e32 vcc_lo, s4, v0
	s_cbranch_vccnz .LBB2_3
; %bb.5:                                ;   in Loop: Header=BB2_4 Depth=1
	s_add_co_i32 s3, s2, 1
	s_add_nc_u64 s[0:1], s[0:1], 4
	s_cmp_eq_u32 s8, s3
	s_mov_b32 s5, 0
	s_cselect_b32 s9, -1, 0
	s_branch .LBB2_3
.LBB2_6:
	s_xor_b32 s0, s5, -1
	s_delay_alu instid0(SALU_CYCLE_1)
	s_and_b32 vcc_lo, exec_lo, s0
	s_cbranch_vccz .LBB2_8
.LBB2_7:
	s_add_co_i32 s2, s8, -1
.LBB2_8:
	s_delay_alu instid0(SALU_CYCLE_1)
	v_dual_mov_b32 v0, 0 :: v_dual_mov_b32 v1, s2
	global_store_b32 v0, v1, s[6:7]
.LBB2_9:
	s_endpgm
.LBB2_10:
                                        ; implicit-def: $sgpr2
	s_cbranch_execnz .LBB2_7
	s_branch .LBB2_8
	.section	.rodata,"a",@progbits
	.p2align	6, 0x0
	.amdhsa_kernel _Z25multinomial_sample_kernelPfiyPi
		.amdhsa_group_segment_fixed_size 0
		.amdhsa_private_segment_fixed_size 0
		.amdhsa_kernarg_size 32
		.amdhsa_user_sgpr_count 2
		.amdhsa_user_sgpr_dispatch_ptr 0
		.amdhsa_user_sgpr_queue_ptr 0
		.amdhsa_user_sgpr_kernarg_segment_ptr 1
		.amdhsa_user_sgpr_dispatch_id 0
		.amdhsa_user_sgpr_kernarg_preload_length 0
		.amdhsa_user_sgpr_kernarg_preload_offset 0
		.amdhsa_user_sgpr_private_segment_size 0
		.amdhsa_wavefront_size32 1
		.amdhsa_uses_dynamic_stack 0
		.amdhsa_enable_private_segment 0
		.amdhsa_system_sgpr_workgroup_id_x 1
		.amdhsa_system_sgpr_workgroup_id_y 0
		.amdhsa_system_sgpr_workgroup_id_z 0
		.amdhsa_system_sgpr_workgroup_info 0
		.amdhsa_system_vgpr_workitem_id 0
		.amdhsa_next_free_vgpr 2
		.amdhsa_next_free_sgpr 12
		.amdhsa_named_barrier_count 0
		.amdhsa_reserve_vcc 1
		.amdhsa_float_round_mode_32 0
		.amdhsa_float_round_mode_16_64 0
		.amdhsa_float_denorm_mode_32 3
		.amdhsa_float_denorm_mode_16_64 3
		.amdhsa_fp16_overflow 0
		.amdhsa_memory_ordered 1
		.amdhsa_forward_progress 1
		.amdhsa_inst_pref_size 3
		.amdhsa_round_robin_scheduling 0
		.amdhsa_exception_fp_ieee_invalid_op 0
		.amdhsa_exception_fp_denorm_src 0
		.amdhsa_exception_fp_ieee_div_zero 0
		.amdhsa_exception_fp_ieee_overflow 0
		.amdhsa_exception_fp_ieee_underflow 0
		.amdhsa_exception_fp_ieee_inexact 0
		.amdhsa_exception_int_div_zero 0
	.end_amdhsa_kernel
	.text
.Lfunc_end2:
	.size	_Z25multinomial_sample_kernelPfiyPi, .Lfunc_end2-_Z25multinomial_sample_kernelPfiyPi
                                        ; -- End function
	.set _Z25multinomial_sample_kernelPfiyPi.num_vgpr, 2
	.set _Z25multinomial_sample_kernelPfiyPi.num_agpr, 0
	.set _Z25multinomial_sample_kernelPfiyPi.numbered_sgpr, 12
	.set _Z25multinomial_sample_kernelPfiyPi.num_named_barrier, 0
	.set _Z25multinomial_sample_kernelPfiyPi.private_seg_size, 0
	.set _Z25multinomial_sample_kernelPfiyPi.uses_vcc, 1
	.set _Z25multinomial_sample_kernelPfiyPi.uses_flat_scratch, 0
	.set _Z25multinomial_sample_kernelPfiyPi.has_dyn_sized_stack, 0
	.set _Z25multinomial_sample_kernelPfiyPi.has_recursion, 0
	.set _Z25multinomial_sample_kernelPfiyPi.has_indirect_call, 0
	.section	.AMDGPU.csdata,"",@progbits
; Kernel info:
; codeLenInByte = 344
; TotalNumSgprs: 14
; NumVgprs: 2
; ScratchSize: 0
; MemoryBound: 0
; FloatMode: 240
; IeeeMode: 1
; LDSByteSize: 0 bytes/workgroup (compile time only)
; SGPRBlocks: 0
; VGPRBlocks: 0
; NumSGPRsForWavesPerEU: 14
; NumVGPRsForWavesPerEU: 2
; NamedBarCnt: 0
; Occupancy: 16
; WaveLimiterHint : 0
; COMPUTE_PGM_RSRC2:SCRATCH_EN: 0
; COMPUTE_PGM_RSRC2:USER_SGPR: 2
; COMPUTE_PGM_RSRC2:TRAP_HANDLER: 0
; COMPUTE_PGM_RSRC2:TGID_X_EN: 1
; COMPUTE_PGM_RSRC2:TGID_Y_EN: 0
; COMPUTE_PGM_RSRC2:TGID_Z_EN: 0
; COMPUTE_PGM_RSRC2:TIDIG_COMP_CNT: 0
	.text
	.protected	_Z24temperature_scale_kernelPfif ; -- Begin function _Z24temperature_scale_kernelPfif
	.globl	_Z24temperature_scale_kernelPfif
	.p2align	8
	.type	_Z24temperature_scale_kernelPfif,@function
_Z24temperature_scale_kernelPfif:       ; @_Z24temperature_scale_kernelPfif
; %bb.0:
	s_clause 0x1
	s_load_b32 s4, s[0:1], 0x1c
	s_load_b64 s[2:3], s[0:1], 0x8
	s_bfe_u32 s5, ttmp6, 0x4000c
	s_and_b32 s6, ttmp6, 15
	s_add_co_i32 s5, s5, 1
	s_getreg_b32 s7, hwreg(HW_REG_IB_STS2, 6, 4)
	s_mul_i32 s5, ttmp9, s5
	s_delay_alu instid0(SALU_CYCLE_1) | instskip(SKIP_4) | instid1(SALU_CYCLE_1)
	s_add_co_i32 s6, s6, s5
	s_wait_kmcnt 0x0
	s_and_b32 s4, s4, 0xffff
	s_cmp_eq_u32 s7, 0
	s_cselect_b32 s5, ttmp9, s6
	v_mad_u32 v0, s5, s4, v0
	s_delay_alu instid0(VALU_DEP_1)
	v_cmp_gt_i32_e32 vcc_lo, s2, v0
	s_and_saveexec_b32 s2, vcc_lo
	s_cbranch_execz .LBB3_2
; %bb.1:
	s_load_b64 s[0:1], s[0:1], 0x0
	s_wait_kmcnt 0x0
	global_load_b32 v1, v0, s[0:1] scale_offset
	s_wait_loadcnt 0x0
	v_div_scale_f32 v2, null, s3, s3, v1
	s_delay_alu instid0(VALU_DEP_1) | instskip(SKIP_1) | instid1(TRANS32_DEP_1)
	v_rcp_f32_e32 v3, v2
	v_nop
	v_fma_f32 v4, -v2, v3, 1.0
	s_delay_alu instid0(VALU_DEP_1) | instskip(SKIP_1) | instid1(VALU_DEP_1)
	v_fmac_f32_e32 v3, v4, v3
	v_div_scale_f32 v4, vcc_lo, v1, s3, v1
	v_mul_f32_e32 v5, v4, v3
	s_delay_alu instid0(VALU_DEP_1) | instskip(NEXT) | instid1(VALU_DEP_1)
	v_fma_f32 v6, -v2, v5, v4
	v_fmac_f32_e32 v5, v6, v3
	s_delay_alu instid0(VALU_DEP_1) | instskip(NEXT) | instid1(VALU_DEP_1)
	v_fma_f32 v2, -v2, v5, v4
	v_div_fmas_f32 v2, v2, v3, v5
	s_delay_alu instid0(VALU_DEP_1)
	v_div_fixup_f32 v1, v2, s3, v1
	global_store_b32 v0, v1, s[0:1] scale_offset
.LBB3_2:
	s_endpgm
	.section	.rodata,"a",@progbits
	.p2align	6, 0x0
	.amdhsa_kernel _Z24temperature_scale_kernelPfif
		.amdhsa_group_segment_fixed_size 0
		.amdhsa_private_segment_fixed_size 0
		.amdhsa_kernarg_size 272
		.amdhsa_user_sgpr_count 2
		.amdhsa_user_sgpr_dispatch_ptr 0
		.amdhsa_user_sgpr_queue_ptr 0
		.amdhsa_user_sgpr_kernarg_segment_ptr 1
		.amdhsa_user_sgpr_dispatch_id 0
		.amdhsa_user_sgpr_kernarg_preload_length 0
		.amdhsa_user_sgpr_kernarg_preload_offset 0
		.amdhsa_user_sgpr_private_segment_size 0
		.amdhsa_wavefront_size32 1
		.amdhsa_uses_dynamic_stack 0
		.amdhsa_enable_private_segment 0
		.amdhsa_system_sgpr_workgroup_id_x 1
		.amdhsa_system_sgpr_workgroup_id_y 0
		.amdhsa_system_sgpr_workgroup_id_z 0
		.amdhsa_system_sgpr_workgroup_info 0
		.amdhsa_system_vgpr_workitem_id 0
		.amdhsa_next_free_vgpr 7
		.amdhsa_next_free_sgpr 8
		.amdhsa_named_barrier_count 0
		.amdhsa_reserve_vcc 1
		.amdhsa_float_round_mode_32 0
		.amdhsa_float_round_mode_16_64 0
		.amdhsa_float_denorm_mode_32 3
		.amdhsa_float_denorm_mode_16_64 3
		.amdhsa_fp16_overflow 0
		.amdhsa_memory_ordered 1
		.amdhsa_forward_progress 1
		.amdhsa_inst_pref_size 2
		.amdhsa_round_robin_scheduling 0
		.amdhsa_exception_fp_ieee_invalid_op 0
		.amdhsa_exception_fp_denorm_src 0
		.amdhsa_exception_fp_ieee_div_zero 0
		.amdhsa_exception_fp_ieee_overflow 0
		.amdhsa_exception_fp_ieee_underflow 0
		.amdhsa_exception_fp_ieee_inexact 0
		.amdhsa_exception_int_div_zero 0
	.end_amdhsa_kernel
	.text
.Lfunc_end3:
	.size	_Z24temperature_scale_kernelPfif, .Lfunc_end3-_Z24temperature_scale_kernelPfif
                                        ; -- End function
	.set _Z24temperature_scale_kernelPfif.num_vgpr, 7
	.set _Z24temperature_scale_kernelPfif.num_agpr, 0
	.set _Z24temperature_scale_kernelPfif.numbered_sgpr, 8
	.set _Z24temperature_scale_kernelPfif.num_named_barrier, 0
	.set _Z24temperature_scale_kernelPfif.private_seg_size, 0
	.set _Z24temperature_scale_kernelPfif.uses_vcc, 1
	.set _Z24temperature_scale_kernelPfif.uses_flat_scratch, 0
	.set _Z24temperature_scale_kernelPfif.has_dyn_sized_stack, 0
	.set _Z24temperature_scale_kernelPfif.has_recursion, 0
	.set _Z24temperature_scale_kernelPfif.has_indirect_call, 0
	.section	.AMDGPU.csdata,"",@progbits
; Kernel info:
; codeLenInByte = 236
; TotalNumSgprs: 10
; NumVgprs: 7
; ScratchSize: 0
; MemoryBound: 0
; FloatMode: 240
; IeeeMode: 1
; LDSByteSize: 0 bytes/workgroup (compile time only)
; SGPRBlocks: 0
; VGPRBlocks: 0
; NumSGPRsForWavesPerEU: 10
; NumVGPRsForWavesPerEU: 7
; NamedBarCnt: 0
; Occupancy: 16
; WaveLimiterHint : 0
; COMPUTE_PGM_RSRC2:SCRATCH_EN: 0
; COMPUTE_PGM_RSRC2:USER_SGPR: 2
; COMPUTE_PGM_RSRC2:TRAP_HANDLER: 0
; COMPUTE_PGM_RSRC2:TGID_X_EN: 1
; COMPUTE_PGM_RSRC2:TGID_Y_EN: 0
; COMPUTE_PGM_RSRC2:TGID_Z_EN: 0
; COMPUTE_PGM_RSRC2:TIDIG_COMP_CNT: 0
	.text
	.p2alignl 7, 3214868480
	.fill 96, 4, 3214868480
	.section	.AMDGPU.gpr_maximums,"",@progbits
	.set amdgpu.max_num_vgpr, 0
	.set amdgpu.max_num_agpr, 0
	.set amdgpu.max_num_sgpr, 0
	.text
	.type	__hip_cuid_2fa322fb2a45493b,@object ; @__hip_cuid_2fa322fb2a45493b
	.section	.bss,"aw",@nobits
	.globl	__hip_cuid_2fa322fb2a45493b
__hip_cuid_2fa322fb2a45493b:
	.byte	0                               ; 0x0
	.size	__hip_cuid_2fa322fb2a45493b, 1

	.ident	"AMD clang version 22.0.0git (https://github.com/RadeonOpenCompute/llvm-project roc-7.2.4 26084 f58b06dce1f9c15707c5f808fd002e18c2accf7e)"
	.section	".note.GNU-stack","",@progbits
	.addrsig
	.addrsig_sym __hip_cuid_2fa322fb2a45493b
	.amdgpu_metadata
---
amdhsa.kernels:
  - .args:
      - .address_space:  global
        .offset:         0
        .size:           8
        .value_kind:     global_buffer
      - .offset:         8
        .size:           4
        .value_kind:     by_value
      - .address_space:  global
        .offset:         16
        .size:           8
        .value_kind:     global_buffer
      - .offset:         24
        .size:           4
        .value_kind:     hidden_block_count_x
      - .offset:         28
        .size:           4
        .value_kind:     hidden_block_count_y
      - .offset:         32
        .size:           4
        .value_kind:     hidden_block_count_z
      - .offset:         36
        .size:           2
        .value_kind:     hidden_group_size_x
      - .offset:         38
        .size:           2
        .value_kind:     hidden_group_size_y
      - .offset:         40
        .size:           2
        .value_kind:     hidden_group_size_z
      - .offset:         42
        .size:           2
        .value_kind:     hidden_remainder_x
      - .offset:         44
        .size:           2
        .value_kind:     hidden_remainder_y
      - .offset:         46
        .size:           2
        .value_kind:     hidden_remainder_z
      - .offset:         64
        .size:           8
        .value_kind:     hidden_global_offset_x
      - .offset:         72
        .size:           8
        .value_kind:     hidden_global_offset_y
      - .offset:         80
        .size:           8
        .value_kind:     hidden_global_offset_z
      - .offset:         88
        .size:           2
        .value_kind:     hidden_grid_dims
    .group_segment_fixed_size: 8192
    .kernarg_segment_align: 8
    .kernarg_segment_size: 280
    .language:       OpenCL C
    .language_version:
      - 2
      - 0
    .max_flat_workgroup_size: 1024
    .name:           _Z13argmax_kernelPfiPi
    .private_segment_fixed_size: 0
    .sgpr_count:     10
    .sgpr_spill_count: 0
    .symbol:         _Z13argmax_kernelPfiPi.kd
    .uniform_work_group_size: 1
    .uses_dynamic_stack: false
    .vgpr_count:     8
    .vgpr_spill_count: 0
    .wavefront_size: 32
  - .args:
      - .actual_access:  read_only
        .address_space:  global
        .offset:         0
        .size:           8
        .value_kind:     global_buffer
      - .offset:         8
        .size:           4
        .value_kind:     by_value
      - .offset:         12
        .size:           4
        .value_kind:     by_value
      - .actual_access:  read_only
        .address_space:  global
        .offset:         16
        .size:           8
        .value_kind:     global_buffer
      - .actual_access:  write_only
        .address_space:  global
        .offset:         24
        .size:           8
        .value_kind:     global_buffer
      - .offset:         32
        .size:           4
        .value_kind:     hidden_block_count_x
      - .offset:         36
        .size:           4
        .value_kind:     hidden_block_count_y
      - .offset:         40
        .size:           4
        .value_kind:     hidden_block_count_z
      - .offset:         44
        .size:           2
        .value_kind:     hidden_group_size_x
      - .offset:         46
        .size:           2
        .value_kind:     hidden_group_size_y
      - .offset:         48
        .size:           2
        .value_kind:     hidden_group_size_z
      - .offset:         50
        .size:           2
        .value_kind:     hidden_remainder_x
      - .offset:         52
        .size:           2
        .value_kind:     hidden_remainder_y
      - .offset:         54
        .size:           2
        .value_kind:     hidden_remainder_z
      - .offset:         72
        .size:           8
        .value_kind:     hidden_global_offset_x
      - .offset:         80
        .size:           8
        .value_kind:     hidden_global_offset_y
      - .offset:         88
        .size:           8
        .value_kind:     hidden_global_offset_z
      - .offset:         96
        .size:           2
        .value_kind:     hidden_grid_dims
    .group_segment_fixed_size: 8192
    .kernarg_segment_align: 8
    .kernarg_segment_size: 288
    .language:       OpenCL C
    .language_version:
      - 2
      - 0
    .max_flat_workgroup_size: 1024
    .name:           _Z21argmax_batched_kernelPKfiiPKiPi
    .private_segment_fixed_size: 0
    .sgpr_count:     16
    .sgpr_spill_count: 0
    .symbol:         _Z21argmax_batched_kernelPKfiiPKiPi.kd
    .uniform_work_group_size: 1
    .uses_dynamic_stack: false
    .vgpr_count:     6
    .vgpr_spill_count: 0
    .wavefront_size: 32
  - .args:
      - .address_space:  global
        .offset:         0
        .size:           8
        .value_kind:     global_buffer
      - .offset:         8
        .size:           4
        .value_kind:     by_value
      - .offset:         16
        .size:           8
        .value_kind:     by_value
      - .address_space:  global
        .offset:         24
        .size:           8
        .value_kind:     global_buffer
    .group_segment_fixed_size: 0
    .kernarg_segment_align: 8
    .kernarg_segment_size: 32
    .language:       OpenCL C
    .language_version:
      - 2
      - 0
    .max_flat_workgroup_size: 1024
    .name:           _Z25multinomial_sample_kernelPfiyPi
    .private_segment_fixed_size: 0
    .sgpr_count:     14
    .sgpr_spill_count: 0
    .symbol:         _Z25multinomial_sample_kernelPfiyPi.kd
    .uniform_work_group_size: 1
    .uses_dynamic_stack: false
    .vgpr_count:     2
    .vgpr_spill_count: 0
    .wavefront_size: 32
  - .args:
      - .address_space:  global
        .offset:         0
        .size:           8
        .value_kind:     global_buffer
      - .offset:         8
        .size:           4
        .value_kind:     by_value
      - .offset:         12
        .size:           4
        .value_kind:     by_value
      - .offset:         16
        .size:           4
        .value_kind:     hidden_block_count_x
      - .offset:         20
        .size:           4
        .value_kind:     hidden_block_count_y
      - .offset:         24
        .size:           4
        .value_kind:     hidden_block_count_z
      - .offset:         28
        .size:           2
        .value_kind:     hidden_group_size_x
      - .offset:         30
        .size:           2
        .value_kind:     hidden_group_size_y
      - .offset:         32
        .size:           2
        .value_kind:     hidden_group_size_z
      - .offset:         34
        .size:           2
        .value_kind:     hidden_remainder_x
      - .offset:         36
        .size:           2
        .value_kind:     hidden_remainder_y
      - .offset:         38
        .size:           2
        .value_kind:     hidden_remainder_z
      - .offset:         56
        .size:           8
        .value_kind:     hidden_global_offset_x
      - .offset:         64
        .size:           8
        .value_kind:     hidden_global_offset_y
      - .offset:         72
        .size:           8
        .value_kind:     hidden_global_offset_z
      - .offset:         80
        .size:           2
        .value_kind:     hidden_grid_dims
    .group_segment_fixed_size: 0
    .kernarg_segment_align: 8
    .kernarg_segment_size: 272
    .language:       OpenCL C
    .language_version:
      - 2
      - 0
    .max_flat_workgroup_size: 1024
    .name:           _Z24temperature_scale_kernelPfif
    .private_segment_fixed_size: 0
    .sgpr_count:     10
    .sgpr_spill_count: 0
    .symbol:         _Z24temperature_scale_kernelPfif.kd
    .uniform_work_group_size: 1
    .uses_dynamic_stack: false
    .vgpr_count:     7
    .vgpr_spill_count: 0
    .wavefront_size: 32
amdhsa.target:   amdgcn-amd-amdhsa--gfx1250
amdhsa.version:
  - 1
  - 2
...

	.end_amdgpu_metadata
